;; amdgpu-corpus repo=ROCm/rocFFT kind=compiled arch=gfx1030 opt=O3
	.text
	.amdgcn_target "amdgcn-amd-amdhsa--gfx1030"
	.amdhsa_code_object_version 6
	.protected	fft_rtc_back_len1728_factors_3_6_6_16_wgs_108_tpt_108_halfLds_dp_op_CI_CI_unitstride_sbrr_dirReg ; -- Begin function fft_rtc_back_len1728_factors_3_6_6_16_wgs_108_tpt_108_halfLds_dp_op_CI_CI_unitstride_sbrr_dirReg
	.globl	fft_rtc_back_len1728_factors_3_6_6_16_wgs_108_tpt_108_halfLds_dp_op_CI_CI_unitstride_sbrr_dirReg
	.p2align	8
	.type	fft_rtc_back_len1728_factors_3_6_6_16_wgs_108_tpt_108_halfLds_dp_op_CI_CI_unitstride_sbrr_dirReg,@function
fft_rtc_back_len1728_factors_3_6_6_16_wgs_108_tpt_108_halfLds_dp_op_CI_CI_unitstride_sbrr_dirReg: ; @fft_rtc_back_len1728_factors_3_6_6_16_wgs_108_tpt_108_halfLds_dp_op_CI_CI_unitstride_sbrr_dirReg
; %bb.0:
	s_clause 0x2
	s_load_dwordx4 s[12:15], s[4:5], 0x0
	s_load_dwordx4 s[8:11], s[4:5], 0x58
	;; [unrolled: 1-line block ×3, first 2 shown]
	v_mul_u32_u24_e32 v2, 0x25f, v0
	v_mov_b32_e32 v1, 0
	v_mov_b32_e32 v4, 0
	;; [unrolled: 1-line block ×3, first 2 shown]
	v_add_nc_u32_sdwa v6, s6, v2 dst_sel:DWORD dst_unused:UNUSED_PAD src0_sel:DWORD src1_sel:WORD_1
	v_mov_b32_e32 v7, v1
	s_waitcnt lgkmcnt(0)
	v_cmp_lt_u64_e64 s0, s[14:15], 2
	s_and_b32 vcc_lo, exec_lo, s0
	s_cbranch_vccnz .LBB0_8
; %bb.1:
	s_load_dwordx2 s[0:1], s[4:5], 0x10
	v_mov_b32_e32 v4, 0
	v_mov_b32_e32 v5, 0
	s_add_u32 s2, s18, 8
	s_addc_u32 s3, s19, 0
	s_add_u32 s6, s16, 8
	s_addc_u32 s7, s17, 0
	v_mov_b32_e32 v97, v5
	v_mov_b32_e32 v96, v4
	s_mov_b64 s[22:23], 1
	s_waitcnt lgkmcnt(0)
	s_add_u32 s20, s0, 8
	s_addc_u32 s21, s1, 0
.LBB0_2:                                ; =>This Inner Loop Header: Depth=1
	s_load_dwordx2 s[24:25], s[20:21], 0x0
                                        ; implicit-def: $vgpr98_vgpr99
	s_mov_b32 s0, exec_lo
	s_waitcnt lgkmcnt(0)
	v_or_b32_e32 v2, s25, v7
	v_cmpx_ne_u64_e32 0, v[1:2]
	s_xor_b32 s1, exec_lo, s0
	s_cbranch_execz .LBB0_4
; %bb.3:                                ;   in Loop: Header=BB0_2 Depth=1
	v_cvt_f32_u32_e32 v2, s24
	v_cvt_f32_u32_e32 v3, s25
	s_sub_u32 s0, 0, s24
	s_subb_u32 s26, 0, s25
	v_fmac_f32_e32 v2, 0x4f800000, v3
	v_rcp_f32_e32 v2, v2
	v_mul_f32_e32 v2, 0x5f7ffffc, v2
	v_mul_f32_e32 v3, 0x2f800000, v2
	v_trunc_f32_e32 v3, v3
	v_fmac_f32_e32 v2, 0xcf800000, v3
	v_cvt_u32_f32_e32 v3, v3
	v_cvt_u32_f32_e32 v2, v2
	v_mul_lo_u32 v8, s0, v3
	v_mul_hi_u32 v9, s0, v2
	v_mul_lo_u32 v10, s26, v2
	v_add_nc_u32_e32 v8, v9, v8
	v_mul_lo_u32 v9, s0, v2
	v_add_nc_u32_e32 v8, v8, v10
	v_mul_hi_u32 v10, v2, v9
	v_mul_lo_u32 v11, v2, v8
	v_mul_hi_u32 v12, v2, v8
	v_mul_hi_u32 v13, v3, v9
	v_mul_lo_u32 v9, v3, v9
	v_mul_hi_u32 v14, v3, v8
	v_mul_lo_u32 v8, v3, v8
	v_add_co_u32 v10, vcc_lo, v10, v11
	v_add_co_ci_u32_e32 v11, vcc_lo, 0, v12, vcc_lo
	v_add_co_u32 v9, vcc_lo, v10, v9
	v_add_co_ci_u32_e32 v9, vcc_lo, v11, v13, vcc_lo
	v_add_co_ci_u32_e32 v10, vcc_lo, 0, v14, vcc_lo
	v_add_co_u32 v8, vcc_lo, v9, v8
	v_add_co_ci_u32_e32 v9, vcc_lo, 0, v10, vcc_lo
	v_add_co_u32 v2, vcc_lo, v2, v8
	v_add_co_ci_u32_e32 v3, vcc_lo, v3, v9, vcc_lo
	v_mul_hi_u32 v8, s0, v2
	v_mul_lo_u32 v10, s26, v2
	v_mul_lo_u32 v9, s0, v3
	v_add_nc_u32_e32 v8, v8, v9
	v_mul_lo_u32 v9, s0, v2
	v_add_nc_u32_e32 v8, v8, v10
	v_mul_hi_u32 v10, v2, v9
	v_mul_lo_u32 v11, v2, v8
	v_mul_hi_u32 v12, v2, v8
	v_mul_hi_u32 v13, v3, v9
	v_mul_lo_u32 v9, v3, v9
	v_mul_hi_u32 v14, v3, v8
	v_mul_lo_u32 v8, v3, v8
	v_add_co_u32 v10, vcc_lo, v10, v11
	v_add_co_ci_u32_e32 v11, vcc_lo, 0, v12, vcc_lo
	v_add_co_u32 v9, vcc_lo, v10, v9
	v_add_co_ci_u32_e32 v9, vcc_lo, v11, v13, vcc_lo
	v_add_co_ci_u32_e32 v10, vcc_lo, 0, v14, vcc_lo
	v_add_co_u32 v8, vcc_lo, v9, v8
	v_add_co_ci_u32_e32 v9, vcc_lo, 0, v10, vcc_lo
	v_add_co_u32 v8, vcc_lo, v2, v8
	v_add_co_ci_u32_e32 v10, vcc_lo, v3, v9, vcc_lo
	v_mul_hi_u32 v12, v6, v8
	v_mad_u64_u32 v[8:9], null, v7, v8, 0
	v_mad_u64_u32 v[2:3], null, v6, v10, 0
	;; [unrolled: 1-line block ×3, first 2 shown]
	v_add_co_u32 v2, vcc_lo, v12, v2
	v_add_co_ci_u32_e32 v3, vcc_lo, 0, v3, vcc_lo
	v_add_co_u32 v2, vcc_lo, v2, v8
	v_add_co_ci_u32_e32 v2, vcc_lo, v3, v9, vcc_lo
	v_add_co_ci_u32_e32 v3, vcc_lo, 0, v11, vcc_lo
	v_add_co_u32 v8, vcc_lo, v2, v10
	v_add_co_ci_u32_e32 v9, vcc_lo, 0, v3, vcc_lo
	v_mul_lo_u32 v10, s25, v8
	v_mad_u64_u32 v[2:3], null, s24, v8, 0
	v_mul_lo_u32 v11, s24, v9
	v_sub_co_u32 v2, vcc_lo, v6, v2
	v_add3_u32 v3, v3, v11, v10
	v_sub_nc_u32_e32 v10, v7, v3
	v_subrev_co_ci_u32_e64 v10, s0, s25, v10, vcc_lo
	v_add_co_u32 v11, s0, v8, 2
	v_add_co_ci_u32_e64 v12, s0, 0, v9, s0
	v_sub_co_u32 v13, s0, v2, s24
	v_sub_co_ci_u32_e32 v3, vcc_lo, v7, v3, vcc_lo
	v_subrev_co_ci_u32_e64 v10, s0, 0, v10, s0
	v_cmp_le_u32_e32 vcc_lo, s24, v13
	v_cmp_eq_u32_e64 s0, s25, v3
	v_cndmask_b32_e64 v13, 0, -1, vcc_lo
	v_cmp_le_u32_e32 vcc_lo, s25, v10
	v_cndmask_b32_e64 v14, 0, -1, vcc_lo
	v_cmp_le_u32_e32 vcc_lo, s24, v2
	;; [unrolled: 2-line block ×3, first 2 shown]
	v_cndmask_b32_e64 v15, 0, -1, vcc_lo
	v_cmp_eq_u32_e32 vcc_lo, s25, v10
	v_cndmask_b32_e64 v2, v15, v2, s0
	v_cndmask_b32_e32 v10, v14, v13, vcc_lo
	v_add_co_u32 v13, vcc_lo, v8, 1
	v_add_co_ci_u32_e32 v14, vcc_lo, 0, v9, vcc_lo
	v_cmp_ne_u32_e32 vcc_lo, 0, v10
	v_cndmask_b32_e32 v3, v14, v12, vcc_lo
	v_cndmask_b32_e32 v10, v13, v11, vcc_lo
	v_cmp_ne_u32_e32 vcc_lo, 0, v2
	v_cndmask_b32_e32 v99, v9, v3, vcc_lo
	v_cndmask_b32_e32 v98, v8, v10, vcc_lo
.LBB0_4:                                ;   in Loop: Header=BB0_2 Depth=1
	s_andn2_saveexec_b32 s0, s1
	s_cbranch_execz .LBB0_6
; %bb.5:                                ;   in Loop: Header=BB0_2 Depth=1
	v_cvt_f32_u32_e32 v2, s24
	s_sub_i32 s1, 0, s24
	v_mov_b32_e32 v99, v1
	v_rcp_iflag_f32_e32 v2, v2
	v_mul_f32_e32 v2, 0x4f7ffffe, v2
	v_cvt_u32_f32_e32 v2, v2
	v_mul_lo_u32 v3, s1, v2
	v_mul_hi_u32 v3, v2, v3
	v_add_nc_u32_e32 v2, v2, v3
	v_mul_hi_u32 v2, v6, v2
	v_mul_lo_u32 v3, v2, s24
	v_add_nc_u32_e32 v8, 1, v2
	v_sub_nc_u32_e32 v3, v6, v3
	v_subrev_nc_u32_e32 v9, s24, v3
	v_cmp_le_u32_e32 vcc_lo, s24, v3
	v_cndmask_b32_e32 v3, v3, v9, vcc_lo
	v_cndmask_b32_e32 v2, v2, v8, vcc_lo
	v_cmp_le_u32_e32 vcc_lo, s24, v3
	v_add_nc_u32_e32 v8, 1, v2
	v_cndmask_b32_e32 v98, v2, v8, vcc_lo
.LBB0_6:                                ;   in Loop: Header=BB0_2 Depth=1
	s_or_b32 exec_lo, exec_lo, s0
	v_mul_lo_u32 v8, v99, s24
	v_mul_lo_u32 v9, v98, s25
	s_load_dwordx2 s[0:1], s[6:7], 0x0
	v_mad_u64_u32 v[2:3], null, v98, s24, 0
	s_load_dwordx2 s[24:25], s[2:3], 0x0
	s_add_u32 s22, s22, 1
	s_addc_u32 s23, s23, 0
	s_add_u32 s2, s2, 8
	s_addc_u32 s3, s3, 0
	s_add_u32 s6, s6, 8
	v_add3_u32 v3, v3, v9, v8
	v_sub_co_u32 v2, vcc_lo, v6, v2
	s_addc_u32 s7, s7, 0
	s_add_u32 s20, s20, 8
	v_sub_co_ci_u32_e32 v3, vcc_lo, v7, v3, vcc_lo
	s_addc_u32 s21, s21, 0
	s_waitcnt lgkmcnt(0)
	v_mul_lo_u32 v6, s0, v3
	v_mul_lo_u32 v7, s1, v2
	v_mad_u64_u32 v[4:5], null, s0, v2, v[4:5]
	v_mul_lo_u32 v3, s24, v3
	v_mul_lo_u32 v8, s25, v2
	v_mad_u64_u32 v[96:97], null, s24, v2, v[96:97]
	v_cmp_ge_u64_e64 s0, s[22:23], s[14:15]
	v_add3_u32 v5, v7, v5, v6
	v_add3_u32 v97, v8, v97, v3
	s_and_b32 vcc_lo, exec_lo, s0
	s_cbranch_vccnz .LBB0_9
; %bb.7:                                ;   in Loop: Header=BB0_2 Depth=1
	v_mov_b32_e32 v6, v98
	v_mov_b32_e32 v7, v99
	s_branch .LBB0_2
.LBB0_8:
	v_mov_b32_e32 v97, v5
	v_mov_b32_e32 v99, v7
	;; [unrolled: 1-line block ×4, first 2 shown]
.LBB0_9:
	s_load_dwordx2 s[0:1], s[4:5], 0x28
	v_mul_hi_u32 v1, 0x25ed098, v0
	s_lshl_b64 s[4:5], s[14:15], 3
                                        ; implicit-def: $sgpr6
                                        ; implicit-def: $vgpr113
	s_add_u32 s2, s18, s4
	s_addc_u32 s3, s19, s5
	s_waitcnt lgkmcnt(0)
	v_cmp_gt_u64_e32 vcc_lo, s[0:1], v[98:99]
	v_cmp_le_u64_e64 s0, s[0:1], v[98:99]
	s_and_saveexec_b32 s1, s0
	s_xor_b32 s0, exec_lo, s1
; %bb.10:
	v_mul_u32_u24_e32 v1, 0x6c, v1
	s_mov_b32 s6, 0
                                        ; implicit-def: $vgpr4_vgpr5
	v_sub_nc_u32_e32 v113, v0, v1
                                        ; implicit-def: $vgpr1
                                        ; implicit-def: $vgpr0
; %bb.11:
	s_or_saveexec_b32 s1, s0
	s_load_dwordx2 s[2:3], s[2:3], 0x0
	v_mov_b32_e32 v100, s6
                                        ; implicit-def: $vgpr42_vgpr43
                                        ; implicit-def: $vgpr2_vgpr3
                                        ; implicit-def: $vgpr78_vgpr79
                                        ; implicit-def: $vgpr38_vgpr39
                                        ; implicit-def: $vgpr30_vgpr31
                                        ; implicit-def: $vgpr46_vgpr47
                                        ; implicit-def: $vgpr34_vgpr35
                                        ; implicit-def: $vgpr70_vgpr71
                                        ; implicit-def: $vgpr58_vgpr59
                                        ; implicit-def: $vgpr66_vgpr67
                                        ; implicit-def: $vgpr74_vgpr75
                                        ; implicit-def: $vgpr62_vgpr63
                                        ; implicit-def: $vgpr86_vgpr87
                                        ; implicit-def: $vgpr94_vgpr95
                                        ; implicit-def: $vgpr90_vgpr91
                                        ; implicit-def: $vgpr54_vgpr55
                                        ; implicit-def: $vgpr50_vgpr51
                                        ; implicit-def: $vgpr82_vgpr83
	s_xor_b32 exec_lo, exec_lo, s1
	s_cbranch_execz .LBB0_15
; %bb.12:
	s_add_u32 s4, s16, s4
	s_addc_u32 s5, s17, s5
                                        ; implicit-def: $vgpr88_vgpr89
                                        ; implicit-def: $vgpr92_vgpr93
                                        ; implicit-def: $vgpr84_vgpr85
	s_load_dwordx2 s[4:5], s[4:5], 0x0
	s_waitcnt lgkmcnt(0)
	v_mul_lo_u32 v6, s5, v98
	v_mul_lo_u32 v7, s4, v99
	v_mad_u64_u32 v[2:3], null, s4, v98, 0
	s_mov_b32 s4, exec_lo
	v_add3_u32 v3, v3, v7, v6
	v_mul_u32_u24_e32 v6, 0x6c, v1
	v_lshlrev_b64 v[1:2], 4, v[2:3]
	v_sub_nc_u32_e32 v113, v0, v6
	v_lshlrev_b64 v[3:4], 4, v[4:5]
	v_add_co_u32 v0, s0, s8, v1
	v_add_co_ci_u32_e64 v1, s0, s9, v2, s0
	v_lshlrev_b32_e32 v2, 4, v113
	v_add_co_u32 v0, s0, v0, v3
	v_add_co_ci_u32_e64 v1, s0, v1, v4, s0
	v_or_b32_e32 v3, 0x4800, v2
	v_add_co_u32 v4, s0, v0, v2
	v_add_co_ci_u32_e64 v5, s0, 0, v1, s0
	v_add_co_u32 v0, s0, v0, v3
	v_add_co_ci_u32_e64 v1, s0, 0, v1, s0
	;; [unrolled: 2-line block ×9, first 2 shown]
	s_clause 0x7
	global_load_dwordx4 v[40:43], v[6:7], off offset:1024
	global_load_dwordx4 v[0:3], v[0:1], off
	global_load_dwordx4 v[36:39], v[8:9], off offset:704
	global_load_dwordx4 v[28:31], v[10:11], off offset:1728
	;; [unrolled: 1-line block ×6, first 2 shown]
	v_add_co_u32 v8, s0, 0x3800, v4
	v_add_co_ci_u32_e64 v9, s0, 0, v5, s0
	v_add_co_u32 v10, s0, 0x5800, v4
	v_add_co_ci_u32_e64 v11, s0, 0, v5, s0
	;; [unrolled: 2-line block ×4, first 2 shown]
	s_clause 0x6
	global_load_dwordx4 v[56:59], v[10:11], off offset:1088
	global_load_dwordx4 v[64:67], v[12:13], off offset:768
	;; [unrolled: 1-line block ×5, first 2 shown]
	global_load_dwordx4 v[80:83], v[4:5], off
	global_load_dwordx4 v[76:79], v[4:5], off offset:1728
	v_cmpx_gt_u32_e32 36, v113
; %bb.13:
	v_add_co_u32 v8, s0, 0x4000, v4
	v_add_co_ci_u32_e64 v9, s0, 0, v5, s0
	v_add_co_u32 v4, s0, 0x6800, v4
	v_add_co_ci_u32_e64 v5, s0, 0, v5, s0
	s_clause 0x2
	global_load_dwordx4 v[88:91], v[6:7], off offset:448
	global_load_dwordx4 v[92:95], v[8:9], off offset:1472
	global_load_dwordx4 v[84:87], v[4:5], off offset:448
; %bb.14:
	s_or_b32 exec_lo, exec_lo, s4
	v_mov_b32_e32 v100, v113
.LBB0_15:
	s_or_b32 exec_lo, exec_lo, s1
	s_waitcnt vmcnt(13)
	v_add_f64 v[4:5], v[40:41], v[0:1]
	s_waitcnt vmcnt(4)
	v_add_f64 v[10:11], v[68:69], v[56:57]
	;; [unrolled: 2-line block ×4, first 2 shown]
	v_add_f64 v[6:7], v[36:37], v[28:29]
	v_add_f64 v[8:9], v[44:45], v[32:33]
	;; [unrolled: 1-line block ×3, first 2 shown]
	v_add_f64 v[18:19], v[42:43], -v[2:3]
	v_add_f64 v[101:102], v[68:69], v[52:53]
	v_add_f64 v[105:106], v[64:65], v[72:73]
	;; [unrolled: 1-line block ×3, first 2 shown]
	v_add_f64 v[109:110], v[94:95], -v[86:87]
	v_add_f64 v[20:21], v[76:77], v[36:37]
	v_add_f64 v[22:23], v[38:39], -v[30:31]
	v_add_f64 v[24:25], v[44:45], v[48:49]
	v_add_f64 v[26:27], v[46:47], -v[34:35]
	v_add_f64 v[103:104], v[70:71], -v[58:59]
	s_mov_b32 s0, 0xe8584caa
	s_mov_b32 s1, 0xbfebb67a
	;; [unrolled: 1-line block ×4, first 2 shown]
	v_fma_f64 v[4:5], v[4:5], -0.5, v[80:81]
	v_fma_f64 v[10:11], v[10:11], -0.5, v[52:53]
	v_add_f64 v[52:53], v[74:75], -v[62:63]
	v_fma_f64 v[12:13], v[12:13], -0.5, v[64:65]
	v_fma_f64 v[14:15], v[14:15], -0.5, v[88:89]
	;; [unrolled: 1-line block ×4, first 2 shown]
	v_add_f64 v[16:17], v[0:1], v[16:17]
	v_add_f64 v[111:112], v[56:57], v[101:102]
	v_add_f64 v[48:49], v[105:106], v[60:61]
	v_add_f64 v[80:81], v[84:85], v[107:108]
	v_mad_u32_u24 v101, v113, 24, 0
	v_add_f64 v[20:21], v[20:21], v[28:29]
	v_add_f64 v[24:25], v[32:33], v[24:25]
	v_add_nc_u32_e32 v106, 0xa20, v101
	v_add_nc_u32_e32 v105, 0x1440, v101
	;; [unrolled: 1-line block ×3, first 2 shown]
	v_fma_f64 v[107:108], v[18:19], s[0:1], v[4:5]
	v_fma_f64 v[118:119], v[103:104], s[0:1], v[10:11]
	;; [unrolled: 1-line block ×12, first 2 shown]
	v_cmp_gt_u32_e64 s1, 36, v113
	v_add_nc_u32_e32 v104, 0x1e60, v101
	v_add_nc_u32_e32 v103, 0x2880, v101
	ds_write2_b64 v101, v[16:17], v[107:108] offset1:1
	ds_write2_b64 v106, v[20:21], v[114:115] offset1:1
	ds_write2_b64 v105, v[24:25], v[116:117] offset1:1
	ds_write2_b64 v104, v[111:112], v[118:119] offset1:1
	ds_write_b64 v101, v[4:5] offset:16
	ds_write_b64 v101, v[6:7] offset:2608
	;; [unrolled: 1-line block ×4, first 2 shown]
	ds_write2_b64 v103, v[48:49], v[64:65] offset1:1
	ds_write_b64 v101, v[52:53] offset:10384
	s_and_saveexec_b32 s0, s1
	s_cbranch_execz .LBB0_17
; %bb.16:
	ds_write2_b64 v102, v[80:81], v[76:77] offset1:1
	ds_write_b64 v101, v[88:89] offset:12976
.LBB0_17:
	s_or_b32 exec_lo, exec_lo, s0
	v_lshlrev_b32_e32 v4, 4, v113
	s_waitcnt lgkmcnt(0)
	s_barrier
	buffer_gl0_inv
	v_cmp_gt_u32_e64 s0, 0x48, v113
	v_sub_nc_u32_e32 v114, v101, v4
	v_add_nc_u32_e32 v8, 0x800, v114
	v_add_nc_u32_e32 v12, 0x1000, v114
	;; [unrolled: 1-line block ×5, first 2 shown]
	ds_read2_b64 v[4:7], v114 offset1:108
	ds_read2_b64 v[8:11], v8 offset0:32 offset1:140
	ds_read2_b64 v[12:15], v12 offset0:64 offset1:172
	;; [unrolled: 1-line block ×5, first 2 shown]
	s_and_saveexec_b32 s4, s0
	s_cbranch_execz .LBB0_19
; %bb.18:
	ds_read_b64 v[48:49], v114 offset:1728
	ds_read_b64 v[64:65], v114 offset:4032
	;; [unrolled: 1-line block ×6, first 2 shown]
.LBB0_19:
	s_or_b32 exec_lo, exec_lo, s4
	v_add_f64 v[107:108], v[42:43], v[2:3]
	v_add_f64 v[109:110], v[38:39], v[30:31]
	;; [unrolled: 1-line block ×7, first 2 shown]
	v_add_f64 v[0:1], v[40:41], -v[0:1]
	v_add_f64 v[38:39], v[78:79], v[38:39]
	v_add_f64 v[40:41], v[46:47], v[50:51]
	v_add_f64 v[46:47], v[70:71], v[54:55]
	v_add_f64 v[70:71], v[66:67], v[74:75]
	v_add_f64 v[74:75], v[94:95], v[90:91]
	v_add_f64 v[28:29], v[36:37], -v[28:29]
	v_add_f64 v[32:33], v[44:45], -v[32:33]
	;; [unrolled: 1-line block ×5, first 2 shown]
	s_mov_b32 s4, 0xe8584caa
	s_mov_b32 s5, 0x3febb67a
	;; [unrolled: 1-line block ×4, first 2 shown]
	v_fma_f64 v[82:83], v[107:108], -0.5, v[82:83]
	v_fma_f64 v[36:37], v[109:110], -0.5, v[78:79]
	;; [unrolled: 1-line block ×6, first 2 shown]
	v_add_f64 v[2:3], v[2:3], v[42:43]
	s_waitcnt lgkmcnt(0)
	v_add_f64 v[30:31], v[38:39], v[30:31]
	v_add_f64 v[34:35], v[34:35], v[40:41]
	v_add_f64 v[38:39], v[58:59], v[46:47]
	v_add_f64 v[50:51], v[70:71], v[62:63]
	v_add_f64 v[60:61], v[86:87], v[74:75]
	s_barrier
	buffer_gl0_inv
	v_fma_f64 v[40:41], v[0:1], s[4:5], v[82:83]
	v_fma_f64 v[42:43], v[28:29], s[4:5], v[36:37]
	;; [unrolled: 1-line block ×12, first 2 shown]
	ds_write2_b64 v101, v[2:3], v[40:41] offset1:1
	ds_write_b64 v101, v[0:1] offset:16
	ds_write2_b64 v106, v[30:31], v[42:43] offset1:1
	ds_write_b64 v101, v[28:29] offset:2608
	;; [unrolled: 2-line block ×5, first 2 shown]
	s_and_saveexec_b32 s4, s1
	s_cbranch_execz .LBB0_21
; %bb.20:
	ds_write2_b64 v102, v[60:61], v[56:57] offset1:1
	ds_write_b64 v101, v[62:63] offset:12976
.LBB0_21:
	s_or_b32 exec_lo, exec_lo, s4
	v_add_nc_u32_e32 v28, 0x800, v114
	v_add_nc_u32_e32 v29, 0x1000, v114
	;; [unrolled: 1-line block ×5, first 2 shown]
	s_waitcnt lgkmcnt(0)
	s_barrier
	buffer_gl0_inv
	ds_read2_b64 v[0:3], v114 offset1:108
	ds_read2_b64 v[36:39], v28 offset0:32 offset1:140
	ds_read2_b64 v[28:31], v29 offset0:64 offset1:172
	;; [unrolled: 1-line block ×5, first 2 shown]
	s_and_saveexec_b32 s1, s0
	s_cbranch_execz .LBB0_23
; %bb.22:
	ds_read_b64 v[50:51], v114 offset:1728
	ds_read_b64 v[58:59], v114 offset:4032
	;; [unrolled: 1-line block ×6, first 2 shown]
.LBB0_23:
	s_or_b32 exec_lo, exec_lo, s1
	v_and_b32_e32 v118, 0xff, v113
	v_add_nc_u16 v117, v113, 0x6c
	v_add_nc_u32_e32 v116, 0xd8, v113
	v_mov_b32_e32 v66, 0xaaab
	v_mov_b32_e32 v68, 5
	v_mul_lo_u16 v67, 0xab, v118
	v_and_b32_e32 v119, 0xff, v117
	s_mov_b32 s4, 0xe8584caa
	v_mul_u32_u24_sdwa v66, v116, v66 dst_sel:DWORD dst_unused:UNUSED_PAD src0_sel:WORD_0 src1_sel:DWORD
	s_mov_b32 s5, 0xbfebb67a
	v_lshrrev_b16 v115, 9, v67
	v_mul_lo_u16 v67, 0xab, v119
	s_mov_b32 s7, 0x3febb67a
	v_lshrrev_b32_e32 v159, 17, v66
	s_mov_b32 s6, s4
	v_mul_lo_u16 v66, v115, 3
	v_lshrrev_b16 v160, 9, v67
	v_mul_lo_u16 v67, v159, 3
	v_sub_nc_u16 v161, v113, v66
	v_mul_lo_u16 v66, v160, 3
	v_sub_nc_u16 v120, v116, v67
	v_mul_u32_u24_sdwa v67, v161, v68 dst_sel:DWORD dst_unused:UNUSED_PAD src0_sel:BYTE_0 src1_sel:DWORD
	v_sub_nc_u16 v162, v117, v66
	v_mul_u32_u24_sdwa v66, v120, v68 dst_sel:DWORD dst_unused:UNUSED_PAD src0_sel:WORD_0 src1_sel:DWORD
	v_lshlrev_b32_e32 v74, 4, v67
	v_mul_u32_u24_sdwa v70, v162, v68 dst_sel:DWORD dst_unused:UNUSED_PAD src0_sel:BYTE_0 src1_sel:DWORD
	v_lshlrev_b32_e32 v75, 4, v66
	global_load_dwordx4 v[66:69], v74, s[12:13] offset:32
	v_lshlrev_b32_e32 v78, 4, v70
	s_clause 0xd
	global_load_dwordx4 v[70:73], v75, s[12:13] offset:32
	global_load_dwordx4 v[82:85], v75, s[12:13] offset:64
	;; [unrolled: 1-line block ×5, first 2 shown]
	global_load_dwordx4 v[109:112], v75, s[12:13]
	global_load_dwordx4 v[121:124], v74, s[12:13]
	;; [unrolled: 1-line block ×3, first 2 shown]
	global_load_dwordx4 v[129:132], v74, s[12:13] offset:16
	global_load_dwordx4 v[133:136], v74, s[12:13] offset:48
	global_load_dwordx4 v[137:140], v75, s[12:13] offset:16
	global_load_dwordx4 v[141:144], v75, s[12:13] offset:48
	global_load_dwordx4 v[145:148], v78, s[12:13] offset:16
	global_load_dwordx4 v[149:152], v78, s[12:13] offset:48
	s_waitcnt vmcnt(0) lgkmcnt(0)
	s_barrier
	buffer_gl0_inv
	v_mul_f64 v[78:79], v[80:81], v[72:73]
	v_mul_f64 v[86:87], v[88:89], v[84:85]
	;; [unrolled: 1-line block ×9, first 2 shown]
	v_fma_f64 v[26:27], v[26:27], v[90:91], v[92:93]
	v_mul_f64 v[92:93], v[58:59], v[111:112]
	v_fma_f64 v[24:25], v[24:25], v[66:67], v[74:75]
	v_fma_f64 v[68:69], v[44:45], v[66:67], -v[68:69]
	v_mul_f64 v[74:75], v[62:63], v[84:85]
	v_mul_f64 v[84:85], v[64:65], v[111:112]
	v_fma_f64 v[66:67], v[60:61], v[70:71], -v[78:79]
	v_mul_f64 v[60:61], v[40:41], v[103:104]
	v_fma_f64 v[44:45], v[62:63], v[82:83], -v[86:87]
	v_fma_f64 v[62:63], v[46:47], v[90:91], -v[94:95]
	v_mul_f64 v[86:87], v[8:9], v[123:124]
	v_fma_f64 v[46:47], v[40:41], v[101:102], -v[153:154]
	v_mul_f64 v[94:95], v[42:43], v[107:108]
	;; [unrolled: 2-line block ×3, first 2 shown]
	v_mul_f64 v[78:79], v[36:37], v[123:124]
	v_mul_f64 v[107:108], v[28:29], v[131:132]
	;; [unrolled: 1-line block ×5, first 2 shown]
	v_fma_f64 v[131:132], v[80:81], v[70:71], v[72:73]
	v_mul_f64 v[135:136], v[54:55], v[139:140]
	v_mul_f64 v[153:154], v[56:57], v[143:144]
	;; [unrolled: 1-line block ×3, first 2 shown]
	v_fma_f64 v[157:158], v[88:89], v[82:83], v[74:75]
	v_mul_f64 v[74:75], v[34:35], v[151:152]
	v_fma_f64 v[42:43], v[58:59], v[109:110], -v[84:85]
	v_fma_f64 v[20:21], v[20:21], v[101:102], v[60:61]
	v_add_f64 v[58:59], v[66:67], v[44:45]
	v_mul_f64 v[88:89], v[52:53], v[139:140]
	v_fma_f64 v[70:71], v[36:37], v[121:122], -v[86:87]
	v_add_f64 v[84:85], v[68:69], v[46:47]
	v_mul_f64 v[86:87], v[38:39], v[127:128]
	v_fma_f64 v[22:23], v[22:23], v[105:106], v[94:95]
	v_fma_f64 v[72:73], v[38:39], v[125:126], -v[103:104]
	v_add_f64 v[94:95], v[62:63], v[40:41]
	v_mul_f64 v[60:61], v[76:77], v[143:144]
	v_mul_f64 v[101:102], v[14:15], v[147:148]
	v_mul_f64 v[103:104], v[18:19], v[151:152]
	v_fma_f64 v[8:9], v[8:9], v[121:122], v[78:79]
	v_fma_f64 v[78:79], v[12:13], v[129:130], v[107:108]
	;; [unrolled: 1-line block ×7, first 2 shown]
	v_add_f64 v[14:15], v[131:132], v[157:158]
	v_fma_f64 v[74:75], v[18:19], v[149:150], v[74:75]
	v_add_f64 v[16:17], v[131:132], -v[157:158]
	v_add_f64 v[18:19], v[24:25], v[20:21]
	v_fma_f64 v[52:53], v[58:59], -0.5, v[42:43]
	v_add_f64 v[58:59], v[24:25], -v[20:21]
	v_fma_f64 v[80:81], v[28:29], v[129:130], -v[90:91]
	v_fma_f64 v[84:85], v[84:85], -0.5, v[70:71]
	v_fma_f64 v[10:11], v[10:11], v[125:126], v[86:87]
	v_add_f64 v[90:91], v[26:27], v[22:23]
	v_add_f64 v[105:106], v[26:27], -v[22:23]
	v_fma_f64 v[107:108], v[94:95], -0.5, v[72:73]
	v_fma_f64 v[28:29], v[32:33], v[133:134], -v[123:124]
	v_fma_f64 v[76:77], v[54:55], v[137:138], -v[88:89]
	;; [unrolled: 1-line block ×5, first 2 shown]
	v_add_f64 v[103:104], v[66:67], -v[44:45]
	v_add_f64 v[56:57], v[78:79], v[82:83]
	v_add_f64 v[121:122], v[68:69], -v[46:47]
	v_add_f64 v[60:61], v[36:37], v[38:39]
	v_add_f64 v[54:55], v[4:5], v[78:79]
	v_fma_f64 v[14:15], v[14:15], -0.5, v[12:13]
	v_add_f64 v[109:110], v[64:65], v[74:75]
	v_add_f64 v[12:13], v[12:13], v[131:132]
	v_fma_f64 v[18:19], v[18:19], -0.5, v[8:9]
	v_fma_f64 v[88:89], v[16:17], s[6:7], v[52:53]
	v_fma_f64 v[34:35], v[16:17], s[4:5], v[52:53]
	v_add_f64 v[16:17], v[62:63], -v[40:41]
	v_fma_f64 v[111:112], v[58:59], s[6:7], v[84:85]
	v_fma_f64 v[92:93], v[58:59], s[4:5], v[84:85]
	v_fma_f64 v[52:53], v[90:91], -0.5, v[10:11]
	v_add_f64 v[8:9], v[8:9], v[24:25]
	v_fma_f64 v[94:95], v[105:106], s[6:7], v[107:108]
	v_fma_f64 v[101:102], v[105:106], s[4:5], v[107:108]
	v_add_f64 v[58:59], v[80:81], -v[28:29]
	v_add_f64 v[24:25], v[48:49], v[36:37]
	v_add_f64 v[123:124], v[76:77], -v[32:33]
	v_add_f64 v[10:11], v[10:11], v[26:27]
	v_add_f64 v[125:126], v[6:7], v[64:65]
	v_fma_f64 v[4:5], v[56:57], -0.5, v[4:5]
	v_add_f64 v[127:128], v[86:87], -v[30:31]
	v_fma_f64 v[26:27], v[60:61], -0.5, v[48:49]
	v_add_f64 v[54:55], v[54:55], v[82:83]
	v_fma_f64 v[84:85], v[103:104], s[4:5], v[14:15]
	v_fma_f64 v[90:91], v[103:104], s[6:7], v[14:15]
	v_fma_f64 v[6:7], v[109:110], -0.5, v[6:7]
	v_fma_f64 v[103:104], v[121:122], s[4:5], v[18:19]
	v_mul_f64 v[14:15], v[88:89], s[4:5]
	v_mul_f64 v[48:49], v[34:35], s[4:5]
	v_fma_f64 v[105:106], v[121:122], s[6:7], v[18:19]
	v_mul_f64 v[18:19], v[111:112], s[4:5]
	v_mul_f64 v[56:57], v[92:93], s[4:5]
	v_fma_f64 v[107:108], v[16:17], s[4:5], v[52:53]
	v_fma_f64 v[109:110], v[16:17], s[6:7], v[52:53]
	v_mul_f64 v[16:17], v[94:95], s[4:5]
	v_mul_f64 v[52:53], v[101:102], s[4:5]
	v_add_f64 v[8:9], v[8:9], v[20:21]
	v_add_f64 v[20:21], v[24:25], v[38:39]
	;; [unrolled: 1-line block ×5, first 2 shown]
	v_fma_f64 v[22:23], v[58:59], s[4:5], v[4:5]
	v_fma_f64 v[4:5], v[58:59], s[6:7], v[4:5]
	;; [unrolled: 1-line block ×4, first 2 shown]
	v_mov_b32_e32 v133, 0x90
	v_fma_f64 v[125:126], v[127:128], s[4:5], v[6:7]
	v_fma_f64 v[6:7], v[127:128], s[6:7], v[6:7]
	v_fma_f64 v[14:15], v[84:85], 0.5, v[14:15]
	v_fma_f64 v[121:122], v[90:91], -0.5, v[48:49]
	v_fma_f64 v[18:19], v[103:104], 0.5, v[18:19]
	v_fma_f64 v[123:124], v[105:106], -0.5, v[56:57]
	;; [unrolled: 2-line block ×3, first 2 shown]
	v_add_f64 v[129:130], v[54:55], v[8:9]
	v_add_f64 v[8:9], v[54:55], -v[8:9]
	v_add_f64 v[48:49], v[20:21], v[12:13]
	v_add_f64 v[58:59], v[20:21], -v[12:13]
	;; [unrolled: 2-line block ×3, first 2 shown]
	v_add_f64 v[56:57], v[60:61], v[14:15]
	v_add_f64 v[52:53], v[26:27], v[121:122]
	v_add_f64 v[54:55], v[60:61], -v[14:15]
	v_add_f64 v[14:15], v[22:23], v[18:19]
	v_add_f64 v[60:61], v[26:27], -v[121:122]
	;; [unrolled: 2-line block ×3, first 2 shown]
	v_add_f64 v[22:23], v[4:5], -v[123:124]
	v_add_f64 v[24:25], v[125:126], v[16:17]
	v_add_f64 v[131:132], v[6:7], v[127:128]
	v_add_f64 v[16:17], v[125:126], -v[16:17]
	v_add_f64 v[5:6], v[6:7], -v[127:128]
	v_mov_b32_e32 v4, 3
	v_mul_u32_u24_sdwa v7, v115, v133 dst_sel:DWORD dst_unused:UNUSED_PAD src0_sel:WORD_0 src1_sel:DWORD
	v_mul_u32_u24_sdwa v26, v160, v133 dst_sel:DWORD dst_unused:UNUSED_PAD src0_sel:WORD_0 src1_sel:DWORD
	v_mul_lo_u16 v121, v159, 18
	v_lshlrev_b32_sdwa v27, v4, v161 dst_sel:DWORD dst_unused:UNUSED_PAD src0_sel:DWORD src1_sel:BYTE_0
	v_lshlrev_b32_sdwa v115, v4, v162 dst_sel:DWORD dst_unused:UNUSED_PAD src0_sel:DWORD src1_sel:BYTE_0
	v_add3_u32 v123, 0, v7, v27
	v_add3_u32 v122, 0, v26, v115
	ds_write2_b64 v123, v[129:130], v[14:15] offset1:3
	ds_write2_b64 v123, v[20:21], v[8:9] offset0:6 offset1:9
	ds_write2_b64 v123, v[18:19], v[22:23] offset0:12 offset1:15
	ds_write2_b64 v122, v[12:13], v[24:25] offset1:3
	ds_write2_b64 v122, v[131:132], v[10:11] offset0:6 offset1:9
	ds_write2_b64 v122, v[16:17], v[5:6] offset0:12 offset1:15
	s_and_saveexec_b32 s1, s0
	s_cbranch_execz .LBB0_25
; %bb.24:
	v_lshlrev_b32_sdwa v5, v4, v120 dst_sel:DWORD dst_unused:UNUSED_PAD src0_sel:DWORD src1_sel:WORD_0
	v_lshlrev_b32_sdwa v4, v4, v121 dst_sel:DWORD dst_unused:UNUSED_PAD src0_sel:DWORD src1_sel:WORD_0
	v_add3_u32 v4, 0, v5, v4
	ds_write2_b64 v4, v[48:49], v[56:57] offset1:3
	ds_write2_b64 v4, v[52:53], v[58:59] offset0:6 offset1:9
	ds_write2_b64 v4, v[54:55], v[60:61] offset0:12 offset1:15
.LBB0_25:
	s_or_b32 exec_lo, exec_lo, s1
	v_add_nc_u32_e32 v8, 0x800, v114
	v_add_nc_u32_e32 v12, 0x1000, v114
	;; [unrolled: 1-line block ×5, first 2 shown]
	s_waitcnt lgkmcnt(0)
	s_barrier
	buffer_gl0_inv
	ds_read2_b64 v[4:7], v114 offset1:108
	ds_read2_b64 v[8:11], v8 offset0:32 offset1:140
	ds_read2_b64 v[12:15], v12 offset0:64 offset1:172
	;; [unrolled: 1-line block ×5, first 2 shown]
	v_lshl_add_u32 v115, v113, 3, 0
	s_and_saveexec_b32 s1, s0
	s_cbranch_execz .LBB0_27
; %bb.26:
	ds_read_b64 v[56:57], v114 offset:4032
	ds_read_b64 v[52:53], v114 offset:6336
	;; [unrolled: 1-line block ×6, first 2 shown]
.LBB0_27:
	s_or_b32 exec_lo, exec_lo, s1
	v_add_f64 v[124:125], v[80:81], v[28:29]
	v_add_f64 v[126:127], v[86:87], v[30:31]
	;; [unrolled: 1-line block ×4, first 2 shown]
	v_add_f64 v[78:79], v[78:79], -v[82:83]
	v_add_f64 v[68:69], v[70:71], v[68:69]
	v_mul_f64 v[70:71], v[111:112], 0.5
	v_add_f64 v[82:83], v[2:3], v[86:87]
	v_add_f64 v[62:63], v[72:73], v[62:63]
	;; [unrolled: 1-line block ×4, first 2 shown]
	v_mul_f64 v[66:67], v[92:93], -0.5
	v_add_f64 v[64:65], v[64:65], -v[74:75]
	v_mul_f64 v[74:75], v[94:95], 0.5
	v_add_f64 v[36:37], v[36:37], -v[38:39]
	v_mul_f64 v[38:39], v[88:89], 0.5
	v_mul_f64 v[34:35], v[34:35], -0.5
	v_mul_f64 v[76:77], v[101:102], -0.5
	s_mov_b32 s4, 0xe8584caa
	s_mov_b32 s5, 0x3febb67a
	;; [unrolled: 1-line block ×4, first 2 shown]
	v_fma_f64 v[0:1], v[124:125], -0.5, v[0:1]
	v_fma_f64 v[2:3], v[126:127], -0.5, v[2:3]
	;; [unrolled: 1-line block ×3, first 2 shown]
	v_add_f64 v[28:29], v[80:81], v[28:29]
	s_waitcnt lgkmcnt(0)
	v_add_f64 v[46:47], v[68:69], v[46:47]
	v_fma_f64 v[70:71], v[103:104], s[4:5], v[70:71]
	v_add_f64 v[30:31], v[82:83], v[30:31]
	v_add_f64 v[40:41], v[62:63], v[40:41]
	;; [unrolled: 1-line block ×4, first 2 shown]
	v_fma_f64 v[44:45], v[105:106], s[4:5], v[66:67]
	s_barrier
	v_fma_f64 v[66:67], v[107:108], s[4:5], v[74:75]
	buffer_gl0_inv
	v_fma_f64 v[38:39], v[84:85], s[4:5], v[38:39]
	v_fma_f64 v[34:35], v[90:91], s[4:5], v[34:35]
	;; [unrolled: 1-line block ×9, first 2 shown]
	v_add_f64 v[76:77], v[28:29], v[46:47]
	v_add_f64 v[28:29], v[28:29], -v[46:47]
	v_add_f64 v[46:47], v[30:31], v[40:41]
	v_add_f64 v[30:31], v[30:31], -v[40:41]
	;; [unrolled: 2-line block ×3, first 2 shown]
	v_add_f64 v[32:33], v[62:63], v[70:71]
	v_add_f64 v[40:41], v[0:1], v[44:45]
	v_add_f64 v[42:43], v[62:63], -v[70:71]
	v_add_f64 v[0:1], v[0:1], -v[44:45]
	v_add_f64 v[44:45], v[74:75], v[66:67]
	v_add_f64 v[74:75], v[74:75], -v[66:67]
	v_add_f64 v[66:67], v[64:65], v[38:39]
	v_add_f64 v[62:63], v[36:37], v[34:35]
	v_add_f64 v[64:65], v[64:65], -v[38:39]
	v_add_f64 v[70:71], v[36:37], -v[34:35]
	v_add_f64 v[78:79], v[2:3], v[72:73]
	v_add_f64 v[2:3], v[2:3], -v[72:73]
	ds_write2_b64 v123, v[76:77], v[32:33] offset1:3
	ds_write2_b64 v123, v[40:41], v[28:29] offset0:6 offset1:9
	ds_write2_b64 v123, v[42:43], v[0:1] offset0:12 offset1:15
	ds_write2_b64 v122, v[46:47], v[44:45] offset1:3
	ds_write2_b64 v122, v[78:79], v[30:31] offset0:6 offset1:9
	ds_write2_b64 v122, v[74:75], v[2:3] offset0:12 offset1:15
	s_and_saveexec_b32 s1, s0
	s_cbranch_execz .LBB0_29
; %bb.28:
	v_mov_b32_e32 v0, 3
	v_lshlrev_b32_sdwa v1, v0, v120 dst_sel:DWORD dst_unused:UNUSED_PAD src0_sel:DWORD src1_sel:WORD_0
	v_lshlrev_b32_sdwa v0, v0, v121 dst_sel:DWORD dst_unused:UNUSED_PAD src0_sel:DWORD src1_sel:WORD_0
	v_add3_u32 v0, 0, v1, v0
	ds_write2_b64 v0, v[50:51], v[66:67] offset1:3
	ds_write2_b64 v0, v[62:63], v[68:69] offset0:6 offset1:9
	ds_write2_b64 v0, v[64:65], v[70:71] offset0:12 offset1:15
.LBB0_29:
	s_or_b32 exec_lo, exec_lo, s1
	v_add_nc_u32_e32 v28, 0x800, v114
	v_add_nc_u32_e32 v29, 0x1000, v114
	;; [unrolled: 1-line block ×5, first 2 shown]
	s_waitcnt lgkmcnt(0)
	s_barrier
	buffer_gl0_inv
	ds_read2_b64 v[0:3], v114 offset1:108
	ds_read2_b64 v[36:39], v28 offset0:32 offset1:140
	ds_read2_b64 v[28:31], v29 offset0:64 offset1:172
	;; [unrolled: 1-line block ×5, first 2 shown]
	s_and_saveexec_b32 s1, s0
	s_cbranch_execz .LBB0_31
; %bb.30:
	ds_read_b64 v[66:67], v114 offset:4032
	ds_read_b64 v[62:63], v114 offset:6336
	;; [unrolled: 1-line block ×6, first 2 shown]
.LBB0_31:
	s_or_b32 exec_lo, exec_lo, s1
	v_mul_lo_u16 v72, v118, 57
	v_mul_lo_u16 v73, v119, 57
	v_mov_b32_e32 v82, 0xe38f
	s_mov_b32 s4, 0xe8584caa
	s_mov_b32 s5, 0xbfebb67a
	v_lshrrev_b16 v95, 10, v72
	v_lshrrev_b16 v156, 10, v73
	v_mov_b32_e32 v73, 5
	v_mul_u32_u24_sdwa v82, v116, v82 dst_sel:DWORD dst_unused:UNUSED_PAD src0_sel:WORD_0 src1_sel:DWORD
	s_mov_b32 s7, 0x3febb67a
	v_mul_lo_u16 v72, v95, 18
	v_mul_lo_u16 v74, v156, 18
	s_mov_b32 s6, s4
	v_lshrrev_b32_e32 v159, 20, v82
	v_sub_nc_u16 v157, v113, v72
	v_sub_nc_u16 v158, v117, v74
	v_mul_lo_u16 v82, v159, 18
	v_mul_u32_u24_sdwa v72, v157, v73 dst_sel:DWORD dst_unused:UNUSED_PAD src0_sel:BYTE_0 src1_sel:DWORD
	v_mul_u32_u24_sdwa v74, v158, v73 dst_sel:DWORD dst_unused:UNUSED_PAD src0_sel:BYTE_0 src1_sel:DWORD
	v_sub_nc_u16 v82, v116, v82
	v_lshlrev_b32_e32 v72, 4, v72
	v_lshlrev_b32_e32 v120, 4, v74
	s_clause 0x9
	global_load_dwordx4 v[74:77], v72, s[12:13] offset:272
	global_load_dwordx4 v[78:81], v72, s[12:13] offset:304
	;; [unrolled: 1-line block ×10, first 2 shown]
	v_mul_u32_u24_sdwa v72, v82, v73 dst_sel:DWORD dst_unused:UNUSED_PAD src0_sel:WORD_0 src1_sel:DWORD
	v_lshlrev_b32_e32 v72, 4, v72
	s_clause 0x4
	global_load_dwordx4 v[124:127], v72, s[12:13] offset:272
	global_load_dwordx4 v[128:131], v72, s[12:13] offset:304
	;; [unrolled: 1-line block ×5, first 2 shown]
	s_waitcnt vmcnt(0) lgkmcnt(0)
	s_barrier
	buffer_gl0_inv
	v_mul_f64 v[72:73], v[20:21], v[76:77]
	v_mul_f64 v[144:145], v[24:25], v[80:81]
	;; [unrolled: 1-line block ×10, first 2 shown]
	v_fma_f64 v[72:73], v[40:41], v[74:75], -v[72:73]
	v_fma_f64 v[40:41], v[44:45], v[78:79], -v[144:145]
	v_mul_f64 v[144:145], v[10:11], v[103:104]
	v_fma_f64 v[44:45], v[42:43], v[83:84], -v[146:147]
	v_fma_f64 v[42:43], v[46:47], v[87:88], -v[148:149]
	v_mul_f64 v[46:47], v[36:37], v[93:94]
	v_mul_f64 v[93:94], v[38:39], v[103:104]
	;; [unrolled: 1-line block ×5, first 2 shown]
	v_fma_f64 v[74:75], v[20:21], v[74:75], v[76:77]
	v_fma_f64 v[154:155], v[24:25], v[78:79], v[80:81]
	v_fma_f64 v[24:25], v[36:37], v[91:92], -v[150:151]
	v_fma_f64 v[83:84], v[22:23], v[83:84], v[85:86]
	v_fma_f64 v[85:86], v[26:27], v[87:88], v[89:90]
	v_mul_f64 v[76:77], v[16:17], v[118:119]
	v_mul_f64 v[78:79], v[14:15], v[111:112]
	;; [unrolled: 1-line block ×8, first 2 shown]
	v_add_f64 v[36:37], v[72:73], v[40:41]
	v_fma_f64 v[20:21], v[38:39], v[101:102], -v[144:145]
	v_mul_f64 v[38:39], v[12:13], v[107:108]
	v_add_f64 v[26:27], v[44:45], v[42:43]
	v_mul_f64 v[107:108], v[70:71], v[130:131]
	v_fma_f64 v[46:47], v[8:9], v[91:92], v[46:47]
	v_fma_f64 v[22:23], v[12:13], v[105:106], v[103:104]
	;; [unrolled: 1-line block ×5, first 2 shown]
	v_add_f64 v[91:92], v[74:75], v[154:155]
	v_add_f64 v[103:104], v[74:75], -v[154:155]
	v_fma_f64 v[93:94], v[10:11], v[101:102], v[93:94]
	v_add_f64 v[101:102], v[83:84], v[85:86]
	v_add_f64 v[118:119], v[83:84], -v[85:86]
	v_fma_f64 v[12:13], v[32:33], v[116:117], -v[76:77]
	v_fma_f64 v[18:19], v[30:31], v[109:110], -v[78:79]
	;; [unrolled: 1-line block ×3, first 2 shown]
	v_fma_f64 v[78:79], v[58:59], v[124:125], v[87:88]
	v_fma_f64 v[34:35], v[68:69], v[124:125], -v[89:90]
	v_fma_f64 v[32:33], v[70:71], v[128:129], -v[111:112]
	v_add_f64 v[58:59], v[72:73], -v[40:41]
	v_fma_f64 v[36:37], v[36:37], -0.5, v[24:25]
	v_add_f64 v[89:90], v[44:45], -v[42:43]
	v_fma_f64 v[28:29], v[28:29], v[105:106], -v[38:39]
	v_fma_f64 v[26:27], v[26:27], -0.5, v[20:21]
	v_fma_f64 v[76:77], v[60:61], v[128:129], v[107:108]
	v_fma_f64 v[80:81], v[56:57], v[132:133], v[122:123]
	v_add_f64 v[56:57], v[4:5], v[22:23]
	v_mul_f64 v[109:110], v[62:63], v[138:139]
	v_add_f64 v[38:39], v[22:23], v[16:17]
	v_add_f64 v[60:61], v[8:9], v[14:15]
	v_fma_f64 v[87:88], v[91:92], -0.5, v[46:47]
	v_add_f64 v[46:47], v[46:47], v[74:75]
	v_add_f64 v[83:84], v[93:94], v[83:84]
	v_fma_f64 v[91:92], v[101:102], -0.5, v[93:94]
	v_mul_f64 v[111:112], v[52:53], v[138:139]
	v_mul_f64 v[116:117], v[64:65], v[142:143]
	v_mov_b32_e32 v130, 0x360
	v_add_f64 v[105:106], v[18:19], -v[10:11]
	v_add_f64 v[107:108], v[34:35], v[32:33]
	v_add_f64 v[120:121], v[34:35], -v[32:33]
	v_fma_f64 v[70:71], v[103:104], s[6:7], v[36:37]
	v_fma_f64 v[68:69], v[103:104], s[4:5], v[36:37]
	v_fma_f64 v[36:37], v[66:67], v[132:133], -v[126:127]
	v_fma_f64 v[30:31], v[118:119], s[6:7], v[26:27]
	v_fma_f64 v[26:27], v[118:119], s[4:5], v[26:27]
	v_add_f64 v[101:102], v[28:29], -v[12:13]
	v_add_f64 v[103:104], v[6:7], v[8:9]
	v_add_f64 v[93:94], v[78:79], v[76:77]
	v_fma_f64 v[38:39], v[38:39], -0.5, v[4:5]
	v_fma_f64 v[60:61], v[60:61], -0.5, v[6:7]
	v_fma_f64 v[74:75], v[58:59], s[4:5], v[87:88]
	v_fma_f64 v[4:5], v[58:59], s[6:7], v[87:88]
	v_mul_f64 v[118:119], v[54:55], v[142:143]
	v_fma_f64 v[6:7], v[89:90], s[4:5], v[91:92]
	v_fma_f64 v[66:67], v[89:90], s[6:7], v[91:92]
	v_add_f64 v[122:123], v[78:79], -v[76:77]
	v_add_f64 v[124:125], v[56:57], v[16:17]
	v_add_f64 v[46:47], v[46:47], v[154:155]
	v_add_f64 v[83:84], v[83:84], v[85:86]
	v_fma_f64 v[56:57], v[52:53], v[136:137], v[109:110]
	v_fma_f64 v[62:63], v[62:63], v[136:137], -v[111:112]
	v_mul_f64 v[58:59], v[70:71], s[4:5]
	v_mul_f64 v[87:88], v[68:69], s[4:5]
	;; [unrolled: 1-line block ×4, first 2 shown]
	v_add_f64 v[103:104], v[103:104], v[14:15]
	v_fma_f64 v[85:86], v[93:94], -0.5, v[80:81]
	v_fma_f64 v[93:94], v[107:108], -0.5, v[36:37]
	v_fma_f64 v[107:108], v[101:102], s[4:5], v[38:39]
	v_fma_f64 v[128:129], v[105:106], s[4:5], v[60:61]
	;; [unrolled: 1-line block ×4, first 2 shown]
	v_fma_f64 v[38:39], v[64:65], v[140:141], -v[118:119]
	v_mul_u32_u24_sdwa v65, v95, v130 dst_sel:DWORD dst_unused:UNUSED_PAD src0_sel:WORD_0 src1_sel:DWORD
	v_mul_lo_u16 v64, 0x6c, v159
	v_add_f64 v[105:106], v[124:125], v[46:47]
	v_add_f64 v[109:110], v[124:125], -v[46:47]
	v_fma_f64 v[126:127], v[74:75], 0.5, v[58:59]
	v_fma_f64 v[87:88], v[4:5], -0.5, v[87:88]
	v_fma_f64 v[58:59], v[54:55], v[140:141], v[116:117]
	v_fma_f64 v[89:90], v[6:7], 0.5, v[89:90]
	v_fma_f64 v[91:92], v[66:67], -0.5, v[91:92]
	v_add_f64 v[111:112], v[103:104], v[83:84]
	v_fma_f64 v[46:47], v[120:121], s[4:5], v[85:86]
	v_fma_f64 v[52:53], v[120:121], s[6:7], v[85:86]
	v_fma_f64 v[54:55], v[122:123], s[6:7], v[93:94]
	v_add_f64 v[103:104], v[103:104], -v[83:84]
	v_mov_b32_e32 v84, 3
	v_lshlrev_b32_sdwa v83, v84, v157 dst_sel:DWORD dst_unused:UNUSED_PAD src0_sel:DWORD src1_sel:BYTE_0
	v_add3_u32 v83, 0, v65, v83
	v_add_f64 v[85:86], v[107:108], v[126:127]
	v_add_f64 v[116:117], v[101:102], v[87:88]
	v_add_f64 v[107:108], v[107:108], -v[126:127]
	v_add_f64 v[87:88], v[101:102], -v[87:88]
	v_add_f64 v[118:119], v[60:61], v[91:92]
	v_add_f64 v[91:92], v[60:61], -v[91:92]
	v_fma_f64 v[60:61], v[122:123], s[4:5], v[93:94]
	v_add_f64 v[101:102], v[128:129], v[89:90]
	v_add_f64 v[89:90], v[128:129], -v[89:90]
	v_mul_u32_u24_sdwa v93, v156, v130 dst_sel:DWORD dst_unused:UNUSED_PAD src0_sel:WORD_0 src1_sel:DWORD
	v_lshlrev_b32_sdwa v94, v84, v158 dst_sel:DWORD dst_unused:UNUSED_PAD src0_sel:DWORD src1_sel:BYTE_0
	v_add3_u32 v65, 0, v93, v94
	ds_write2_b64 v83, v[105:106], v[85:86] offset1:18
	ds_write2_b64 v83, v[116:117], v[109:110] offset0:36 offset1:54
	ds_write2_b64 v83, v[107:108], v[87:88] offset0:72 offset1:90
	ds_write2_b64 v65, v[111:112], v[101:102] offset1:18
	ds_write2_b64 v65, v[118:119], v[103:104] offset0:36 offset1:54
	ds_write2_b64 v65, v[89:90], v[91:92] offset0:72 offset1:90
	s_and_saveexec_b32 s1, s0
	s_cbranch_execz .LBB0_33
; %bb.32:
	v_add_f64 v[85:86], v[56:57], v[58:59]
	v_add_f64 v[87:88], v[62:63], -v[38:39]
	v_mul_f64 v[89:90], v[60:61], s[4:5]
	v_add_f64 v[91:92], v[48:49], v[56:57]
	v_add_f64 v[78:79], v[80:81], v[78:79]
	v_mul_f64 v[80:81], v[54:55], s[4:5]
	v_fma_f64 v[48:49], v[85:86], -0.5, v[48:49]
	v_fma_f64 v[85:86], v[52:53], -0.5, v[89:90]
	v_add_f64 v[89:90], v[91:92], v[58:59]
	v_add_f64 v[76:77], v[78:79], v[76:77]
	v_fma_f64 v[78:79], v[46:47], 0.5, v[80:81]
	v_fma_f64 v[80:81], v[87:88], s[6:7], v[48:49]
	v_fma_f64 v[48:49], v[87:88], s[4:5], v[48:49]
	v_add_f64 v[87:88], v[89:90], -v[76:77]
	v_add_f64 v[76:77], v[89:90], v[76:77]
	v_add_f64 v[89:90], v[80:81], -v[85:86]
	v_add_f64 v[91:92], v[48:49], v[78:79]
	v_add_f64 v[80:81], v[80:81], v[85:86]
	v_add_f64 v[48:49], v[48:49], -v[78:79]
	v_lshlrev_b32_sdwa v78, v84, v82 dst_sel:DWORD dst_unused:UNUSED_PAD src0_sel:DWORD src1_sel:WORD_0
	v_lshlrev_b32_sdwa v79, v84, v64 dst_sel:DWORD dst_unused:UNUSED_PAD src0_sel:DWORD src1_sel:WORD_0
	v_add3_u32 v78, 0, v78, v79
	ds_write2_b64 v78, v[76:77], v[91:92] offset1:18
	ds_write2_b64 v78, v[80:81], v[87:88] offset0:36 offset1:54
	ds_write2_b64 v78, v[48:49], v[89:90] offset0:72 offset1:90
.LBB0_33:
	s_or_b32 exec_lo, exec_lo, s1
	v_add_f64 v[48:49], v[28:29], v[12:13]
	v_add_f64 v[76:77], v[18:19], v[10:11]
	v_add_f64 v[28:29], v[0:1], v[28:29]
	v_add_f64 v[16:17], v[22:23], -v[16:17]
	v_add_f64 v[22:23], v[24:25], v[72:73]
	v_mul_f64 v[24:25], v[70:71], 0.5
	v_add_f64 v[20:21], v[20:21], v[44:45]
	v_mul_f64 v[44:45], v[68:69], -0.5
	v_add_f64 v[18:19], v[2:3], v[18:19]
	v_add_f64 v[8:9], v[8:9], -v[14:15]
	v_mul_f64 v[14:15], v[30:31], 0.5
	v_mul_f64 v[26:27], v[26:27], -0.5
	v_add_nc_u32_e32 v84, 0x2000, v114
	v_add_nc_u32_e32 v85, 0x2800, v114
	;; [unrolled: 1-line block ×3, first 2 shown]
	s_waitcnt lgkmcnt(0)
	s_barrier
	buffer_gl0_inv
	v_fma_f64 v[0:1], v[48:49], -0.5, v[0:1]
	v_fma_f64 v[2:3], v[76:77], -0.5, v[2:3]
	v_add_f64 v[12:13], v[28:29], v[12:13]
	v_add_f64 v[28:29], v[22:23], v[40:41]
	v_fma_f64 v[24:25], v[74:75], s[6:7], v[24:25]
	v_add_f64 v[40:41], v[20:21], v[42:43]
	v_fma_f64 v[42:43], v[4:5], s[6:7], v[44:45]
	v_add_f64 v[30:31], v[18:19], v[10:11]
	v_add_nc_u32_e32 v4, 0x400, v115
	v_fma_f64 v[14:15], v[6:7], s[6:7], v[14:15]
	v_fma_f64 v[26:27], v[66:67], s[6:7], v[26:27]
	v_add_nc_u32_e32 v5, 0xc00, v115
	v_add_nc_u32_e32 v6, 0x1000, v114
	;; [unrolled: 1-line block ×3, first 2 shown]
	v_fma_f64 v[44:45], v[16:17], s[6:7], v[0:1]
	v_fma_f64 v[48:49], v[16:17], s[4:5], v[0:1]
	;; [unrolled: 1-line block ×4, first 2 shown]
	ds_read2_b64 v[0:3], v114 offset1:108
	ds_read2_b64 v[8:11], v4 offset0:88 offset1:196
	ds_read2_b64 v[16:19], v5 offset0:48 offset1:156
	;; [unrolled: 1-line block ×4, first 2 shown]
	v_add_f64 v[70:71], v[12:13], v[28:29]
	v_add_f64 v[72:73], v[12:13], -v[28:29]
	v_add_f64 v[74:75], v[30:31], v[40:41]
	v_add_f64 v[40:41], v[30:31], -v[40:41]
	v_add_f64 v[76:77], v[44:45], v[24:25]
	v_add_f64 v[78:79], v[48:49], v[42:43]
	v_add_f64 v[44:45], v[44:45], -v[24:25]
	v_add_f64 v[42:43], v[48:49], -v[42:43]
	v_add_f64 v[48:49], v[66:67], v[14:15]
	v_add_f64 v[80:81], v[68:69], v[26:27]
	v_add_f64 v[66:67], v[66:67], -v[14:15]
	v_add_f64 v[68:69], v[68:69], -v[26:27]
	ds_read2_b64 v[12:15], v84 offset0:56 offset1:164
	ds_read2_b64 v[24:27], v85 offset0:16 offset1:124
	;; [unrolled: 1-line block ×3, first 2 shown]
	s_waitcnt lgkmcnt(0)
	s_barrier
	buffer_gl0_inv
	ds_write2_b64 v83, v[70:71], v[76:77] offset1:18
	ds_write2_b64 v83, v[78:79], v[72:73] offset0:36 offset1:54
	ds_write2_b64 v83, v[44:45], v[42:43] offset0:72 offset1:90
	ds_write2_b64 v65, v[74:75], v[48:49] offset1:18
	ds_write2_b64 v65, v[80:81], v[40:41] offset0:36 offset1:54
	ds_write2_b64 v65, v[66:67], v[68:69] offset0:72 offset1:90
	s_and_saveexec_b32 s1, s0
	s_cbranch_execz .LBB0_35
; %bb.34:
	v_add_f64 v[40:41], v[62:63], v[38:39]
	v_add_f64 v[42:43], v[50:51], v[62:63]
	v_add_f64 v[44:45], v[56:57], -v[58:59]
	v_add_f64 v[34:35], v[36:37], v[34:35]
	v_mul_f64 v[36:37], v[54:55], 0.5
	v_mul_f64 v[48:49], v[60:61], -0.5
	s_mov_b32 s4, 0xe8584caa
	s_mov_b32 s5, 0x3febb67a
	s_mov_b32 s7, 0xbfebb67a
	s_mov_b32 s6, s4
	v_fma_f64 v[40:41], v[40:41], -0.5, v[50:51]
	v_add_f64 v[38:39], v[42:43], v[38:39]
	v_add_f64 v[32:33], v[34:35], v[32:33]
	v_fma_f64 v[34:35], v[46:47], s[4:5], v[36:37]
	v_fma_f64 v[36:37], v[52:53], s[4:5], v[48:49]
	;; [unrolled: 1-line block ×4, first 2 shown]
	v_add_f64 v[44:45], v[38:39], v[32:33]
	v_add_f64 v[32:33], v[38:39], -v[32:33]
	v_add_f64 v[38:39], v[42:43], v[34:35]
	v_add_f64 v[46:47], v[40:41], v[36:37]
	v_add_f64 v[34:35], v[42:43], -v[34:35]
	v_add_f64 v[36:37], v[40:41], -v[36:37]
	v_mov_b32_e32 v40, 3
	v_lshlrev_b32_sdwa v41, v40, v82 dst_sel:DWORD dst_unused:UNUSED_PAD src0_sel:DWORD src1_sel:WORD_0
	v_lshlrev_b32_sdwa v40, v40, v64 dst_sel:DWORD dst_unused:UNUSED_PAD src0_sel:DWORD src1_sel:WORD_0
	v_add3_u32 v40, 0, v41, v40
	ds_write2_b64 v40, v[44:45], v[38:39] offset1:18
	ds_write2_b64 v40, v[46:47], v[32:33] offset0:36 offset1:54
	ds_write2_b64 v40, v[34:35], v[36:37] offset0:72 offset1:90
.LBB0_35:
	s_or_b32 exec_lo, exec_lo, s1
	s_waitcnt lgkmcnt(0)
	s_barrier
	buffer_gl0_inv
	s_and_saveexec_b32 s0, vcc_lo
	s_cbranch_execz .LBB0_37
; %bb.36:
	v_mul_u32_u24_e32 v32, 15, v113
	v_add_nc_u32_e32 v101, 0x400, v115
	v_add_nc_u32_e32 v105, 0x2000, v114
	;; [unrolled: 1-line block ×4, first 2 shown]
	v_lshlrev_b32_e32 v88, 4, v32
	v_add_nc_u32_e32 v117, 0x1800, v114
	v_add_nc_u32_e32 v121, 0xc00, v115
	;; [unrolled: 1-line block ×3, first 2 shown]
	v_mul_lo_u32 v159, s3, v98
	s_clause 0xe
	global_load_dwordx4 v[32:35], v88, s[12:13] offset:1696
	global_load_dwordx4 v[36:39], v88, s[12:13] offset:1824
	;; [unrolled: 1-line block ×15, first 2 shown]
	ds_read2_b64 v[92:95], v114 offset1:108
	ds_read2_b64 v[101:104], v101 offset0:88 offset1:196
	ds_read2_b64 v[105:108], v105 offset0:56 offset1:164
	;; [unrolled: 1-line block ×7, first 2 shown]
	v_mul_lo_u32 v160, s2, v99
	v_mad_u64_u32 v[98:99], null, s2, v98, 0
	s_mov_b32 s0, 0x667f3bcd
	s_mov_b32 s1, 0x3fe6a09e
	;; [unrolled: 1-line block ×6, first 2 shown]
	v_add3_u32 v99, v99, v160, v159
	s_mov_b32 s6, 0xa6aea964
	s_mov_b32 s7, 0xbfd87de2
	;; [unrolled: 1-line block ×6, first 2 shown]
	s_waitcnt vmcnt(14)
	v_mul_f64 v[129:130], v[8:9], v[34:35]
	s_waitcnt lgkmcnt(6)
	v_mul_f64 v[34:35], v[101:102], v[34:35]
	s_waitcnt vmcnt(13)
	v_mul_f64 v[131:132], v[12:13], v[38:39]
	s_waitcnt lgkmcnt(5)
	v_mul_f64 v[38:39], v[105:106], v[38:39]
	s_waitcnt vmcnt(12)
	v_mul_f64 v[133:134], v[20:21], v[40:41]
	v_mul_f64 v[20:21], v[20:21], v[42:43]
	s_waitcnt vmcnt(11)
	v_mul_f64 v[135:136], v[28:29], v[44:45]
	;; [unrolled: 3-line block ×3, first 2 shown]
	s_waitcnt vmcnt(9)
	v_mul_f64 v[139:140], v[16:17], v[52:53]
	s_waitcnt vmcnt(8)
	v_mul_f64 v[141:142], v[24:25], v[56:57]
	;; [unrolled: 2-line block ×10, first 2 shown]
	v_mul_f64 v[78:79], v[103:104], v[78:79]
	v_mul_f64 v[22:23], v[22:23], v[86:87]
	;; [unrolled: 1-line block ×8, first 2 shown]
	s_waitcnt lgkmcnt(2)
	v_mul_f64 v[66:67], v[119:120], v[66:67]
	v_mul_f64 v[50:51], v[117:118], v[50:51]
	;; [unrolled: 1-line block ×3, first 2 shown]
	v_fma_f64 v[129:130], v[101:102], v[32:33], -v[129:130]
	v_fma_f64 v[8:9], v[8:9], v[32:33], v[34:35]
	v_fma_f64 v[32:33], v[105:106], v[36:37], -v[131:132]
	v_fma_f64 v[12:13], v[12:13], v[36:37], v[38:39]
	v_fma_f64 v[34:35], v[109:110], v[42:43], v[133:134]
	v_fma_f64 v[20:21], v[109:110], v[40:41], -v[20:21]
	v_fma_f64 v[36:37], v[113:114], v[46:47], v[135:136]
	v_fma_f64 v[28:29], v[113:114], v[44:45], -v[28:29]
	v_fma_f64 v[38:39], v[117:118], v[48:49], -v[137:138]
	;; [unrolled: 1-line block ×3, first 2 shown]
	s_waitcnt lgkmcnt(1)
	v_fma_f64 v[42:43], v[121:122], v[54:55], v[139:140]
	s_waitcnt lgkmcnt(0)
	v_fma_f64 v[44:45], v[125:126], v[58:59], v[141:142]
	v_fma_f64 v[46:47], v[94:95], v[60:61], -v[143:144]
	v_fma_f64 v[54:55], v[123:124], v[70:71], v[147:148]
	v_fma_f64 v[58:59], v[127:128], v[74:75], v[149:150]
	v_fma_f64 v[70:71], v[103:104], v[76:77], -v[151:152]
	v_fma_f64 v[74:75], v[107:108], v[80:81], -v[153:154]
	v_fma_f64 v[86:87], v[111:112], v[86:87], v[155:156]
	v_fma_f64 v[90:91], v[115:116], v[90:91], v[157:158]
	;; [unrolled: 1-line block ×4, first 2 shown]
	v_fma_f64 v[22:23], v[111:112], v[84:85], -v[22:23]
	v_fma_f64 v[30:31], v[115:116], v[88:89], -v[30:31]
	v_fma_f64 v[2:3], v[2:3], v[60:61], v[62:63]
	v_fma_f64 v[6:7], v[6:7], v[64:65], v[66:67]
	v_fma_f64 v[18:19], v[123:124], v[68:69], -v[18:19]
	v_fma_f64 v[26:27], v[127:128], v[72:73], -v[26:27]
	;; [unrolled: 1-line block ×4, first 2 shown]
	v_fma_f64 v[4:5], v[4:5], v[48:49], v[50:51]
	v_add_f64 v[38:39], v[92:93], -v[38:39]
	v_add_f64 v[32:33], v[129:130], -v[32:33]
	;; [unrolled: 1-line block ×9, first 2 shown]
	v_lshlrev_b64 v[56:57], 4, v[98:99]
	v_add_f64 v[52:53], v[86:87], -v[90:91]
	v_lshlrev_b64 v[58:59], 4, v[96:97]
	v_add_f64 v[14:15], v[10:11], -v[14:15]
	v_mov_b32_e32 v101, 0
	v_add_f64 v[30:31], v[22:23], -v[30:31]
	v_add_co_u32 v60, vcc_lo, s10, v56
	v_add_f64 v[6:7], v[2:3], -v[6:7]
	v_add_f64 v[26:27], v[18:19], -v[26:27]
	v_add_co_ci_u32_e32 v61, vcc_lo, s11, v57, vcc_lo
	v_add_f64 v[24:25], v[16:17], -v[24:25]
	v_add_f64 v[4:5], v[0:1], -v[4:5]
	v_add_co_u32 v78, vcc_lo, v60, v58
	v_add_co_ci_u32_e32 v79, vcc_lo, v61, v59, vcc_lo
	v_add_f64 v[58:59], v[38:39], -v[44:45]
	v_add_f64 v[60:61], v[32:33], -v[36:37]
	v_add_f64 v[62:63], v[12:13], v[28:29]
	v_add_f64 v[64:65], v[40:41], -v[48:49]
	v_fma_f64 v[76:77], v[92:93], 2.0, -v[38:39]
	v_add_f64 v[66:67], v[50:51], -v[52:53]
	v_fma_f64 v[8:9], v[8:9], 2.0, -v[12:13]
	v_fma_f64 v[10:11], v[10:11], 2.0, -v[14:15]
	v_fma_f64 v[20:21], v[20:21], 2.0, -v[28:29]
	v_add_f64 v[68:69], v[14:15], v[30:31]
	v_fma_f64 v[28:29], v[70:71], 2.0, -v[50:51]
	v_fma_f64 v[42:43], v[42:43], 2.0, -v[44:45]
	v_fma_f64 v[2:3], v[2:3], 2.0, -v[6:7]
	v_add_f64 v[72:73], v[6:7], v[26:27]
	;; [unrolled: 4-line block ×3, first 2 shown]
	v_fma_f64 v[24:25], v[34:35], 2.0, -v[36:37]
	v_fma_f64 v[34:35], v[46:47], 2.0, -v[40:41]
	v_fma_f64 v[36:37], v[54:55], 2.0, -v[48:49]
	v_fma_f64 v[46:47], v[129:130], 2.0, -v[32:33]
	v_fma_f64 v[0:1], v[0:1], 2.0, -v[4:5]
	v_fma_f64 v[22:23], v[22:23], 2.0, -v[30:31]
	v_fma_f64 v[30:31], v[38:39], 2.0, -v[58:59]
	v_fma_f64 v[32:33], v[32:33], 2.0, -v[60:61]
	v_fma_f64 v[12:13], v[12:13], 2.0, -v[62:63]
	v_fma_f64 v[38:39], v[40:41], 2.0, -v[64:65]
	v_fma_f64 v[40:41], v[50:51], 2.0, -v[66:67]
	v_lshlrev_b64 v[56:57], 4, v[100:101]
	v_fma_f64 v[44:45], v[60:61], s[0:1], v[58:59]
	v_fma_f64 v[14:15], v[14:15], 2.0, -v[68:69]
	v_fma_f64 v[48:49], v[66:67], s[0:1], v[64:65]
	v_fma_f64 v[6:7], v[6:7], 2.0, -v[72:73]
	v_fma_f64 v[50:51], v[68:69], s[0:1], v[72:73]
	v_add_f64 v[26:27], v[10:11], -v[26:27]
	v_add_f64 v[16:17], v[76:77], -v[16:17]
	v_fma_f64 v[4:5], v[4:5], 2.0, -v[74:75]
	v_add_f64 v[24:25], v[8:9], -v[24:25]
	v_add_f64 v[18:19], v[34:35], -v[18:19]
	;; [unrolled: 1-line block ×6, first 2 shown]
	v_fma_f64 v[52:53], v[62:63], s[0:1], v[74:75]
	v_add_co_u32 v70, vcc_lo, v78, v56
	v_add_co_ci_u32_e32 v71, vcc_lo, v79, v57, vcc_lo
	v_fma_f64 v[54:55], v[32:33], s[2:3], v[30:31]
	v_fma_f64 v[56:57], v[40:41], s[2:3], v[38:39]
	v_fma_f64 v[44:45], v[62:63], s[2:3], v[44:45]
	v_fma_f64 v[48:49], v[68:69], s[2:3], v[48:49]
	v_add_co_u32 v78, vcc_lo, 0x800, v70
	v_fma_f64 v[80:81], v[14:15], s[2:3], v[6:7]
	v_fma_f64 v[50:51], v[66:67], s[0:1], v[50:51]
	v_fma_f64 v[10:11], v[10:11], 2.0, -v[26:27]
	v_fma_f64 v[62:63], v[76:77], 2.0, -v[16:17]
	v_fma_f64 v[82:83], v[12:13], s[2:3], v[4:5]
	v_fma_f64 v[8:9], v[8:9], 2.0, -v[24:25]
	v_fma_f64 v[34:35], v[34:35], 2.0, -v[18:19]
	v_fma_f64 v[2:3], v[2:3], 2.0, -v[36:37]
	v_fma_f64 v[46:47], v[46:47], 2.0, -v[20:21]
	v_fma_f64 v[0:1], v[0:1], 2.0, -v[42:43]
	v_fma_f64 v[28:29], v[28:29], 2.0, -v[22:23]
	v_fma_f64 v[52:53], v[60:61], s[0:1], v[52:53]
	v_add_f64 v[60:61], v[16:17], -v[24:25]
	v_add_f64 v[24:25], v[18:19], -v[26:27]
	v_add_f64 v[22:23], v[36:37], v[22:23]
	v_add_f64 v[66:67], v[42:43], v[20:21]
	v_fma_f64 v[54:55], v[12:13], s[2:3], v[54:55]
	v_fma_f64 v[12:13], v[14:15], s[2:3], v[56:57]
	v_fma_f64 v[58:59], v[58:59], 2.0, -v[44:45]
	v_fma_f64 v[20:21], v[64:65], 2.0, -v[48:49]
	v_add_co_ci_u32_e32 v79, vcc_lo, 0, v71, vcc_lo
	v_fma_f64 v[14:15], v[40:41], s[0:1], v[80:81]
	v_fma_f64 v[26:27], v[72:73], 2.0, -v[50:51]
	v_add_co_u32 v84, vcc_lo, 0x1000, v70
	v_fma_f64 v[56:57], v[32:33], s[0:1], v[82:83]
	v_add_co_ci_u32_e32 v85, vcc_lo, 0, v71, vcc_lo
	v_add_f64 v[10:11], v[2:3], -v[10:11]
	v_add_f64 v[40:41], v[62:63], -v[46:47]
	;; [unrolled: 1-line block ×4, first 2 shown]
	v_fma_f64 v[64:65], v[74:75], 2.0, -v[52:53]
	v_fma_f64 v[72:73], v[16:17], 2.0, -v[60:61]
	;; [unrolled: 1-line block ×7, first 2 shown]
	v_fma_f64 v[16:17], v[24:25], s[0:1], v[60:61]
	v_fma_f64 v[18:19], v[22:23], s[0:1], v[66:67]
	v_fma_f64 v[90:91], v[20:21], s[6:7], v[58:59]
	v_fma_f64 v[38:39], v[12:13], s[8:9], v[54:55]
	v_fma_f64 v[30:31], v[6:7], 2.0, -v[14:15]
	v_fma_f64 v[6:7], v[50:51], s[4:5], v[52:53]
	v_add_co_u32 v68, vcc_lo, 0x1800, v70
	v_fma_f64 v[82:83], v[4:5], 2.0, -v[56:57]
	v_fma_f64 v[4:5], v[48:49], s[4:5], v[44:45]
	v_fma_f64 v[42:43], v[14:15], s[8:9], v[56:57]
	v_fma_f64 v[100:101], v[2:3], 2.0, -v[10:11]
	v_fma_f64 v[62:63], v[62:63], 2.0, -v[40:41]
	v_fma_f64 v[98:99], v[0:1], 2.0, -v[46:47]
	v_fma_f64 v[34:35], v[34:35], 2.0, -v[8:9]
	v_fma_f64 v[92:93], v[26:27], s[6:7], v[64:65]
	v_add_f64 v[10:11], v[40:41], -v[10:11]
	v_fma_f64 v[94:95], v[28:29], s[2:3], v[72:73]
	v_add_f64 v[8:9], v[46:47], v[8:9]
	v_fma_f64 v[96:97], v[32:33], s[2:3], v[74:75]
	v_add_co_ci_u32_e32 v69, vcc_lo, 0, v71, vcc_lo
	v_fma_f64 v[102:103], v[36:37], s[12:13], v[80:81]
	v_add_co_u32 v76, vcc_lo, 0x2000, v70
	v_fma_f64 v[14:15], v[14:15], s[12:13], v[38:39]
	v_add_co_ci_u32_e32 v77, vcc_lo, 0, v71, vcc_lo
	v_fma_f64 v[0:1], v[48:49], s[8:9], v[6:7]
	v_fma_f64 v[6:7], v[22:23], s[2:3], v[16:17]
	;; [unrolled: 1-line block ×7, first 2 shown]
	v_add_f64 v[24:25], v[98:99], -v[100:101]
	v_add_f64 v[26:27], v[62:63], -v[34:35]
	v_fma_f64 v[16:17], v[20:21], s[4:5], v[92:93]
	v_add_co_u32 v86, vcc_lo, 0x2800, v70
	v_fma_f64 v[22:23], v[32:33], s[2:3], v[94:95]
	v_fma_f64 v[20:21], v[28:29], s[0:1], v[96:97]
	v_add_co_ci_u32_e32 v87, vcc_lo, 0, v71, vcc_lo
	v_fma_f64 v[30:31], v[30:31], s[6:7], v[102:103]
	v_add_co_u32 v88, vcc_lo, 0x3000, v70
	v_fma_f64 v[42:43], v[40:41], 2.0, -v[10:11]
	v_fma_f64 v[40:41], v[46:47], 2.0, -v[8:9]
	v_add_co_ci_u32_e32 v89, vcc_lo, 0, v71, vcc_lo
	v_fma_f64 v[38:39], v[60:61], 2.0, -v[6:7]
	v_fma_f64 v[28:29], v[36:37], s[8:9], v[104:105]
	v_add_co_u32 v106, vcc_lo, 0x3800, v70
	v_fma_f64 v[36:37], v[66:67], 2.0, -v[4:5]
	v_fma_f64 v[34:35], v[44:45], 2.0, -v[2:3]
	;; [unrolled: 1-line block ×3, first 2 shown]
	v_add_co_ci_u32_e32 v107, vcc_lo, 0, v71, vcc_lo
	v_add_co_u32 v108, vcc_lo, 0x4000, v70
	v_add_co_ci_u32_e32 v109, vcc_lo, 0, v71, vcc_lo
	v_fma_f64 v[44:45], v[56:57], 2.0, -v[12:13]
	v_fma_f64 v[50:51], v[58:59], 2.0, -v[18:19]
	;; [unrolled: 1-line block ×4, first 2 shown]
	v_add_co_u32 v90, vcc_lo, 0x4800, v70
	v_fma_f64 v[46:47], v[54:55], 2.0, -v[14:15]
	v_fma_f64 v[54:55], v[72:73], 2.0, -v[22:23]
	;; [unrolled: 1-line block ×4, first 2 shown]
	v_add_co_ci_u32_e32 v91, vcc_lo, 0, v71, vcc_lo
	v_add_co_u32 v92, vcc_lo, 0x5000, v70
	v_fma_f64 v[62:63], v[80:81], 2.0, -v[30:31]
	v_fma_f64 v[60:61], v[82:83], 2.0, -v[28:29]
	v_add_co_ci_u32_e32 v93, vcc_lo, 0, v71, vcc_lo
	v_add_co_u32 v64, vcc_lo, 0x5800, v70
	v_add_co_ci_u32_e32 v65, vcc_lo, 0, v71, vcc_lo
	v_add_co_u32 v66, vcc_lo, 0x6000, v70
	v_add_co_ci_u32_e32 v67, vcc_lo, 0, v71, vcc_lo
	global_store_dwordx4 v[92:93], v[8:11], off offset:256
	global_store_dwordx4 v[64:65], v[4:7], off offset:1664
	;; [unrolled: 1-line block ×9, first 2 shown]
	global_store_dwordx4 v[70:71], v[56:59], off
	global_store_dwordx4 v[78:79], v[52:55], off offset:1408
	global_store_dwordx4 v[84:85], v[48:51], off offset:1088
	;; [unrolled: 1-line block ×6, first 2 shown]
.LBB0_37:
	s_endpgm
	.section	.rodata,"a",@progbits
	.p2align	6, 0x0
	.amdhsa_kernel fft_rtc_back_len1728_factors_3_6_6_16_wgs_108_tpt_108_halfLds_dp_op_CI_CI_unitstride_sbrr_dirReg
		.amdhsa_group_segment_fixed_size 0
		.amdhsa_private_segment_fixed_size 0
		.amdhsa_kernarg_size 104
		.amdhsa_user_sgpr_count 6
		.amdhsa_user_sgpr_private_segment_buffer 1
		.amdhsa_user_sgpr_dispatch_ptr 0
		.amdhsa_user_sgpr_queue_ptr 0
		.amdhsa_user_sgpr_kernarg_segment_ptr 1
		.amdhsa_user_sgpr_dispatch_id 0
		.amdhsa_user_sgpr_flat_scratch_init 0
		.amdhsa_user_sgpr_private_segment_size 0
		.amdhsa_wavefront_size32 1
		.amdhsa_uses_dynamic_stack 0
		.amdhsa_system_sgpr_private_segment_wavefront_offset 0
		.amdhsa_system_sgpr_workgroup_id_x 1
		.amdhsa_system_sgpr_workgroup_id_y 0
		.amdhsa_system_sgpr_workgroup_id_z 0
		.amdhsa_system_sgpr_workgroup_info 0
		.amdhsa_system_vgpr_workitem_id 0
		.amdhsa_next_free_vgpr 163
		.amdhsa_next_free_sgpr 27
		.amdhsa_reserve_vcc 1
		.amdhsa_reserve_flat_scratch 0
		.amdhsa_float_round_mode_32 0
		.amdhsa_float_round_mode_16_64 0
		.amdhsa_float_denorm_mode_32 3
		.amdhsa_float_denorm_mode_16_64 3
		.amdhsa_dx10_clamp 1
		.amdhsa_ieee_mode 1
		.amdhsa_fp16_overflow 0
		.amdhsa_workgroup_processor_mode 1
		.amdhsa_memory_ordered 1
		.amdhsa_forward_progress 0
		.amdhsa_shared_vgpr_count 0
		.amdhsa_exception_fp_ieee_invalid_op 0
		.amdhsa_exception_fp_denorm_src 0
		.amdhsa_exception_fp_ieee_div_zero 0
		.amdhsa_exception_fp_ieee_overflow 0
		.amdhsa_exception_fp_ieee_underflow 0
		.amdhsa_exception_fp_ieee_inexact 0
		.amdhsa_exception_int_div_zero 0
	.end_amdhsa_kernel
	.text
.Lfunc_end0:
	.size	fft_rtc_back_len1728_factors_3_6_6_16_wgs_108_tpt_108_halfLds_dp_op_CI_CI_unitstride_sbrr_dirReg, .Lfunc_end0-fft_rtc_back_len1728_factors_3_6_6_16_wgs_108_tpt_108_halfLds_dp_op_CI_CI_unitstride_sbrr_dirReg
                                        ; -- End function
	.section	.AMDGPU.csdata,"",@progbits
; Kernel info:
; codeLenInByte = 10772
; NumSgprs: 29
; NumVgprs: 163
; ScratchSize: 0
; MemoryBound: 1
; FloatMode: 240
; IeeeMode: 1
; LDSByteSize: 0 bytes/workgroup (compile time only)
; SGPRBlocks: 3
; VGPRBlocks: 20
; NumSGPRsForWavesPerEU: 29
; NumVGPRsForWavesPerEU: 163
; Occupancy: 5
; WaveLimiterHint : 1
; COMPUTE_PGM_RSRC2:SCRATCH_EN: 0
; COMPUTE_PGM_RSRC2:USER_SGPR: 6
; COMPUTE_PGM_RSRC2:TRAP_HANDLER: 0
; COMPUTE_PGM_RSRC2:TGID_X_EN: 1
; COMPUTE_PGM_RSRC2:TGID_Y_EN: 0
; COMPUTE_PGM_RSRC2:TGID_Z_EN: 0
; COMPUTE_PGM_RSRC2:TIDIG_COMP_CNT: 0
	.text
	.p2alignl 6, 3214868480
	.fill 48, 4, 3214868480
	.type	__hip_cuid_d0bd84ed101ff517,@object ; @__hip_cuid_d0bd84ed101ff517
	.section	.bss,"aw",@nobits
	.globl	__hip_cuid_d0bd84ed101ff517
__hip_cuid_d0bd84ed101ff517:
	.byte	0                               ; 0x0
	.size	__hip_cuid_d0bd84ed101ff517, 1

	.ident	"AMD clang version 19.0.0git (https://github.com/RadeonOpenCompute/llvm-project roc-6.4.0 25133 c7fe45cf4b819c5991fe208aaa96edf142730f1d)"
	.section	".note.GNU-stack","",@progbits
	.addrsig
	.addrsig_sym __hip_cuid_d0bd84ed101ff517
	.amdgpu_metadata
---
amdhsa.kernels:
  - .args:
      - .actual_access:  read_only
        .address_space:  global
        .offset:         0
        .size:           8
        .value_kind:     global_buffer
      - .offset:         8
        .size:           8
        .value_kind:     by_value
      - .actual_access:  read_only
        .address_space:  global
        .offset:         16
        .size:           8
        .value_kind:     global_buffer
      - .actual_access:  read_only
        .address_space:  global
        .offset:         24
        .size:           8
        .value_kind:     global_buffer
      - .actual_access:  read_only
        .address_space:  global
        .offset:         32
        .size:           8
        .value_kind:     global_buffer
      - .offset:         40
        .size:           8
        .value_kind:     by_value
      - .actual_access:  read_only
        .address_space:  global
        .offset:         48
        .size:           8
        .value_kind:     global_buffer
      - .actual_access:  read_only
        .address_space:  global
        .offset:         56
        .size:           8
        .value_kind:     global_buffer
      - .offset:         64
        .size:           4
        .value_kind:     by_value
      - .actual_access:  read_only
        .address_space:  global
        .offset:         72
        .size:           8
        .value_kind:     global_buffer
      - .actual_access:  read_only
        .address_space:  global
        .offset:         80
        .size:           8
        .value_kind:     global_buffer
      - .actual_access:  read_only
        .address_space:  global
        .offset:         88
        .size:           8
        .value_kind:     global_buffer
      - .actual_access:  write_only
        .address_space:  global
        .offset:         96
        .size:           8
        .value_kind:     global_buffer
    .group_segment_fixed_size: 0
    .kernarg_segment_align: 8
    .kernarg_segment_size: 104
    .language:       OpenCL C
    .language_version:
      - 2
      - 0
    .max_flat_workgroup_size: 108
    .name:           fft_rtc_back_len1728_factors_3_6_6_16_wgs_108_tpt_108_halfLds_dp_op_CI_CI_unitstride_sbrr_dirReg
    .private_segment_fixed_size: 0
    .sgpr_count:     29
    .sgpr_spill_count: 0
    .symbol:         fft_rtc_back_len1728_factors_3_6_6_16_wgs_108_tpt_108_halfLds_dp_op_CI_CI_unitstride_sbrr_dirReg.kd
    .uniform_work_group_size: 1
    .uses_dynamic_stack: false
    .vgpr_count:     163
    .vgpr_spill_count: 0
    .wavefront_size: 32
    .workgroup_processor_mode: 1
amdhsa.target:   amdgcn-amd-amdhsa--gfx1030
amdhsa.version:
  - 1
  - 2
...

	.end_amdgpu_metadata
